;; amdgpu-corpus repo=zjin-lcf/HeCBench kind=compiled arch=gfx1030 opt=O3
	.amdgcn_target "amdgcn-amd-amdhsa--gfx1030"
	.amdhsa_code_object_version 6
	.text
	.protected	_Z14gelu_bias_loopP6__halfPKS_ii ; -- Begin function _Z14gelu_bias_loopP6__halfPKS_ii
	.globl	_Z14gelu_bias_loopP6__halfPKS_ii
	.p2align	8
	.type	_Z14gelu_bias_loopP6__halfPKS_ii,@function
_Z14gelu_bias_loopP6__halfPKS_ii:       ; @_Z14gelu_bias_loopP6__halfPKS_ii
; %bb.0:
	s_load_dwordx2 s[8:9], s[4:5], 0x10
	v_lshlrev_b32_e32 v2, 1, v0
	s_mov_b32 s0, exec_lo
	s_waitcnt lgkmcnt(0)
	v_cmpx_gt_i32_e64 s8, v2
	s_cbranch_execz .LBB0_11
; %bb.1:
	s_clause 0x1
	s_load_dword s10, s[4:5], 0x24
	s_load_dwordx4 s[0:3], s[4:5], 0x0
	s_mul_i32 s5, s9, s7
	s_mov_b32 s4, 0
	s_add_i32 s5, s5, s6
	s_mov_b32 s7, 0xbbbac73d
	s_mul_i32 s5, s5, s8
	s_waitcnt lgkmcnt(0)
	s_and_b32 s6, s10, 0xffff
	s_lshl_b32 s6, s6, 1
	s_branch .LBB0_3
.LBB0_2:                                ;   in Loop: Header=BB0_3 Depth=1
	s_or_b32 exec_lo, exec_lo, s9
	v_bfi_b32 v4, 0x7fffffff, v5, v4
	v_mul_f32_e32 v3, 0.5, v3
	v_bfi_b32 v5, 0x7fffffff, v8, v7
	v_add_nc_u32_e32 v2, s6, v2
	v_mul_f32_e32 v6, 0.5, v6
	v_add_f32_e32 v4, 1.0, v4
	v_add_f32_e32 v5, 1.0, v5
	v_cmp_le_i32_e32 vcc_lo, s8, v2
	v_fma_mixlo_f16 v3, v3, v4, 0
	s_or_b32 s4, vcc_lo, s4
	v_fma_mixhi_f16 v3, v6, v5, 0
	global_store_dword v[0:1], v3, off
	s_andn2_b32 exec_lo, exec_lo, s4
	s_cbranch_execz .LBB0_11
.LBB0_3:                                ; =>This Inner Loop Header: Depth=1
	v_add_nc_u32_e32 v1, s5, v2
	v_ashrrev_i32_e32 v0, 1, v2
	v_ashrrev_i32_e32 v3, 1, v1
	v_ashrrev_i32_e32 v1, 31, v0
	v_ashrrev_i32_e32 v4, 31, v3
	v_lshlrev_b64 v[0:1], 2, v[0:1]
	v_lshlrev_b64 v[3:4], 2, v[3:4]
	v_add_co_u32 v5, vcc_lo, s2, v0
	v_add_co_ci_u32_e64 v6, null, s3, v1, vcc_lo
	v_add_co_u32 v0, vcc_lo, s0, v3
	v_add_co_ci_u32_e64 v1, null, s1, v4, vcc_lo
	global_load_dword v3, v[5:6], off
	global_load_dword v4, v[0:1], off
                                        ; implicit-def: $vgpr5
	s_waitcnt vmcnt(0)
	v_pk_add_f16 v7, v3, v4
	v_cvt_f32_f16_e32 v3, v7
	v_mul_f32_e32 v4, 0x3d372713, v3
	v_mul_f32_e32 v4, v4, v3
	v_fma_mix_f32 v4, v4, v7, v7 op_sel_hi:[0,1,1]
	v_mul_f32_e32 v4, 0x3f4c422a, v4
	v_cmp_ngt_f32_e64 s9, 0x3f200000, |v4|
	s_and_saveexec_b32 s10, s9
	s_xor_b32 s9, exec_lo, s10
	s_cbranch_execz .LBB0_5
; %bb.4:                                ;   in Loop: Header=BB0_3 Depth=1
	v_add_f32_e64 v5, |v4|, |v4|
	v_mul_f32_e32 v6, 0x3fb8aa3b, v5
	v_cmp_ngt_f32_e32 vcc_lo, 0xc2ce8ed0, v5
	v_rndne_f32_e32 v8, v6
	v_fma_f32 v9, 0x3fb8aa3b, v5, -v6
	v_sub_f32_e32 v6, v6, v8
	v_fmac_f32_e32 v9, 0x32a5705f, v5
	v_cvt_i32_f32_e32 v8, v8
	v_add_f32_e32 v6, v6, v9
	v_exp_f32_e32 v6, v6
	v_ldexp_f32 v6, v6, v8
	v_cndmask_b32_e32 v6, 0, v6, vcc_lo
	v_cmp_nlt_f32_e32 vcc_lo, 0x42b17218, v5
	v_cndmask_b32_e32 v5, 0x7f800000, v6, vcc_lo
	v_add_f32_e32 v5, 1.0, v5
	v_rcp_f32_e32 v5, v5
	v_fma_f32 v5, v5, -2.0, 1.0
.LBB0_5:                                ;   in Loop: Header=BB0_3 Depth=1
	s_andn2_saveexec_b32 s9, s9
	s_cbranch_execz .LBB0_7
; %bb.6:                                ;   in Loop: Header=BB0_3 Depth=1
	v_mul_f32_e32 v5, v4, v4
	v_fmaak_f32 v6, s7, v5, 0x3ca908c9
	v_fmaak_f32 v6, v5, v6, 0xbd5c1c4e
	;; [unrolled: 1-line block ×4, first 2 shown]
	v_mul_f32_e64 v6, |v4|, v6
	v_fma_f32 v5, v5, v6, |v4|
.LBB0_7:                                ;   in Loop: Header=BB0_3 Depth=1
	s_or_b32 exec_lo, exec_lo, s9
	v_cvt_f32_f16_sdwa v6, v7 dst_sel:DWORD dst_unused:UNUSED_PAD src0_sel:WORD_1
	v_mul_f32_e32 v8, 0x3d372713, v6
	v_mul_f32_e32 v8, v8, v6
	v_fma_mix_f32 v7, v8, v7, v7 op_sel:[0,1,1] op_sel_hi:[0,1,1]
                                        ; implicit-def: $vgpr8
	v_mul_f32_e32 v7, 0x3f4c422a, v7
	v_cmp_ngt_f32_e64 s9, 0x3f200000, |v7|
	s_and_saveexec_b32 s10, s9
	s_xor_b32 s9, exec_lo, s10
	s_cbranch_execz .LBB0_9
; %bb.8:                                ;   in Loop: Header=BB0_3 Depth=1
	v_add_f32_e64 v8, |v7|, |v7|
	v_mul_f32_e32 v9, 0x3fb8aa3b, v8
	v_cmp_ngt_f32_e32 vcc_lo, 0xc2ce8ed0, v8
	v_rndne_f32_e32 v10, v9
	v_fma_f32 v11, 0x3fb8aa3b, v8, -v9
	v_sub_f32_e32 v9, v9, v10
	v_fmac_f32_e32 v11, 0x32a5705f, v8
	v_cvt_i32_f32_e32 v10, v10
	v_add_f32_e32 v9, v9, v11
	v_exp_f32_e32 v9, v9
	v_ldexp_f32 v9, v9, v10
	v_cndmask_b32_e32 v9, 0, v9, vcc_lo
	v_cmp_nlt_f32_e32 vcc_lo, 0x42b17218, v8
	v_cndmask_b32_e32 v8, 0x7f800000, v9, vcc_lo
	v_add_f32_e32 v8, 1.0, v8
	v_rcp_f32_e32 v8, v8
	v_fma_f32 v8, v8, -2.0, 1.0
.LBB0_9:                                ;   in Loop: Header=BB0_3 Depth=1
	s_andn2_saveexec_b32 s9, s9
	s_cbranch_execz .LBB0_2
; %bb.10:                               ;   in Loop: Header=BB0_3 Depth=1
	v_mul_f32_e32 v8, v7, v7
	v_fmaak_f32 v9, s7, v8, 0x3ca908c9
	v_fmaak_f32 v9, v8, v9, 0xbd5c1c4e
	;; [unrolled: 1-line block ×4, first 2 shown]
	v_mul_f32_e64 v9, |v7|, v9
	v_fma_f32 v8, v8, v9, |v7|
	s_branch .LBB0_2
.LBB0_11:
	s_endpgm
	.section	.rodata,"a",@progbits
	.p2align	6, 0x0
	.amdhsa_kernel _Z14gelu_bias_loopP6__halfPKS_ii
		.amdhsa_group_segment_fixed_size 0
		.amdhsa_private_segment_fixed_size 0
		.amdhsa_kernarg_size 280
		.amdhsa_user_sgpr_count 6
		.amdhsa_user_sgpr_private_segment_buffer 1
		.amdhsa_user_sgpr_dispatch_ptr 0
		.amdhsa_user_sgpr_queue_ptr 0
		.amdhsa_user_sgpr_kernarg_segment_ptr 1
		.amdhsa_user_sgpr_dispatch_id 0
		.amdhsa_user_sgpr_flat_scratch_init 0
		.amdhsa_user_sgpr_private_segment_size 0
		.amdhsa_wavefront_size32 1
		.amdhsa_uses_dynamic_stack 0
		.amdhsa_system_sgpr_private_segment_wavefront_offset 0
		.amdhsa_system_sgpr_workgroup_id_x 1
		.amdhsa_system_sgpr_workgroup_id_y 1
		.amdhsa_system_sgpr_workgroup_id_z 0
		.amdhsa_system_sgpr_workgroup_info 0
		.amdhsa_system_vgpr_workitem_id 0
		.amdhsa_next_free_vgpr 12
		.amdhsa_next_free_sgpr 11
		.amdhsa_reserve_vcc 1
		.amdhsa_reserve_flat_scratch 0
		.amdhsa_float_round_mode_32 0
		.amdhsa_float_round_mode_16_64 0
		.amdhsa_float_denorm_mode_32 3
		.amdhsa_float_denorm_mode_16_64 3
		.amdhsa_dx10_clamp 1
		.amdhsa_ieee_mode 1
		.amdhsa_fp16_overflow 0
		.amdhsa_workgroup_processor_mode 1
		.amdhsa_memory_ordered 1
		.amdhsa_forward_progress 1
		.amdhsa_shared_vgpr_count 0
		.amdhsa_exception_fp_ieee_invalid_op 0
		.amdhsa_exception_fp_denorm_src 0
		.amdhsa_exception_fp_ieee_div_zero 0
		.amdhsa_exception_fp_ieee_overflow 0
		.amdhsa_exception_fp_ieee_underflow 0
		.amdhsa_exception_fp_ieee_inexact 0
		.amdhsa_exception_int_div_zero 0
	.end_amdhsa_kernel
	.text
.Lfunc_end0:
	.size	_Z14gelu_bias_loopP6__halfPKS_ii, .Lfunc_end0-_Z14gelu_bias_loopP6__halfPKS_ii
                                        ; -- End function
	.set _Z14gelu_bias_loopP6__halfPKS_ii.num_vgpr, 12
	.set _Z14gelu_bias_loopP6__halfPKS_ii.num_agpr, 0
	.set _Z14gelu_bias_loopP6__halfPKS_ii.numbered_sgpr, 11
	.set _Z14gelu_bias_loopP6__halfPKS_ii.num_named_barrier, 0
	.set _Z14gelu_bias_loopP6__halfPKS_ii.private_seg_size, 0
	.set _Z14gelu_bias_loopP6__halfPKS_ii.uses_vcc, 1
	.set _Z14gelu_bias_loopP6__halfPKS_ii.uses_flat_scratch, 0
	.set _Z14gelu_bias_loopP6__halfPKS_ii.has_dyn_sized_stack, 0
	.set _Z14gelu_bias_loopP6__halfPKS_ii.has_recursion, 0
	.set _Z14gelu_bias_loopP6__halfPKS_ii.has_indirect_call, 0
	.section	.AMDGPU.csdata,"",@progbits
; Kernel info:
; codeLenInByte = 744
; TotalNumSgprs: 13
; NumVgprs: 12
; ScratchSize: 0
; MemoryBound: 0
; FloatMode: 240
; IeeeMode: 1
; LDSByteSize: 0 bytes/workgroup (compile time only)
; SGPRBlocks: 0
; VGPRBlocks: 1
; NumSGPRsForWavesPerEU: 13
; NumVGPRsForWavesPerEU: 12
; Occupancy: 16
; WaveLimiterHint : 0
; COMPUTE_PGM_RSRC2:SCRATCH_EN: 0
; COMPUTE_PGM_RSRC2:USER_SGPR: 6
; COMPUTE_PGM_RSRC2:TRAP_HANDLER: 0
; COMPUTE_PGM_RSRC2:TGID_X_EN: 1
; COMPUTE_PGM_RSRC2:TGID_Y_EN: 1
; COMPUTE_PGM_RSRC2:TGID_Z_EN: 0
; COMPUTE_PGM_RSRC2:TIDIG_COMP_CNT: 0
	.text
	.protected	_Z19gelu_bias_loop_baseP6__halfPKS_ii ; -- Begin function _Z19gelu_bias_loop_baseP6__halfPKS_ii
	.globl	_Z19gelu_bias_loop_baseP6__halfPKS_ii
	.p2align	8
	.type	_Z19gelu_bias_loop_baseP6__halfPKS_ii,@function
_Z19gelu_bias_loop_baseP6__halfPKS_ii:  ; @_Z19gelu_bias_loop_baseP6__halfPKS_ii
; %bb.0:
	s_load_dwordx2 s[8:9], s[4:5], 0x10
	s_mov_b32 s0, exec_lo
	s_waitcnt lgkmcnt(0)
	v_cmpx_gt_i32_e64 s8, v0
	s_cbranch_execz .LBB1_7
; %bb.1:
	s_clause 0x1
	s_load_dword s10, s[4:5], 0x24
	s_load_dwordx4 s[0:3], s[4:5], 0x0
	s_mul_i32 s4, s9, s7
	s_mov_b32 s7, 0xbbbac73d
	s_add_i32 s5, s4, s6
	s_mov_b32 s4, 0
	s_mul_i32 s5, s5, s8
	s_waitcnt lgkmcnt(0)
	s_and_b32 s6, s10, 0xffff
	s_branch .LBB1_3
.LBB1_2:                                ;   in Loop: Header=BB1_3 Depth=1
	s_or_b32 exec_lo, exec_lo, s9
	v_bfi_b32 v4, 0x7fffffff, v5, v4
	v_add_nc_u32_e32 v0, s6, v0
	v_mul_f32_e32 v3, 0.5, v3
	v_add_f32_e32 v4, 1.0, v4
	v_cmp_le_i32_e32 vcc_lo, s8, v0
	v_fma_mixlo_f16 v3, v3, v4, 0
	s_or_b32 s4, vcc_lo, s4
	global_store_short v[1:2], v3, off
	s_andn2_b32 exec_lo, exec_lo, s4
	s_cbranch_execz .LBB1_7
.LBB1_3:                                ; =>This Inner Loop Header: Depth=1
	v_add_nc_u32_e32 v2, s5, v0
	v_ashrrev_i32_e32 v1, 31, v0
	v_ashrrev_i32_e32 v3, 31, v2
	v_lshlrev_b64 v[4:5], 1, v[0:1]
	v_lshlrev_b64 v[1:2], 1, v[2:3]
	v_add_co_u32 v3, vcc_lo, s2, v4
	v_add_co_ci_u32_e64 v4, null, s3, v5, vcc_lo
	v_add_co_u32 v1, vcc_lo, s0, v1
	v_add_co_ci_u32_e64 v2, null, s1, v2, vcc_lo
	global_load_ushort v3, v[3:4], off
	global_load_ushort v4, v[1:2], off
	s_waitcnt vmcnt(0)
	v_add_f16_e32 v4, v3, v4
	v_cvt_f32_f16_e32 v3, v4
	v_mul_f32_e32 v5, 0x3d372713, v3
	v_mul_f32_e32 v5, v5, v3
	v_fma_mix_f32 v4, v5, v4, v4 op_sel_hi:[0,1,1]
                                        ; implicit-def: $vgpr5
	v_mul_f32_e32 v4, 0x3f4c422a, v4
	v_cmp_ngt_f32_e64 s9, 0x3f200000, |v4|
	s_and_saveexec_b32 s10, s9
	s_xor_b32 s9, exec_lo, s10
	s_cbranch_execz .LBB1_5
; %bb.4:                                ;   in Loop: Header=BB1_3 Depth=1
	v_add_f32_e64 v5, |v4|, |v4|
	v_mul_f32_e32 v6, 0x3fb8aa3b, v5
	v_cmp_ngt_f32_e32 vcc_lo, 0xc2ce8ed0, v5
	v_rndne_f32_e32 v7, v6
	v_fma_f32 v8, 0x3fb8aa3b, v5, -v6
	v_sub_f32_e32 v6, v6, v7
	v_fmac_f32_e32 v8, 0x32a5705f, v5
	v_cvt_i32_f32_e32 v7, v7
	v_add_f32_e32 v6, v6, v8
	v_exp_f32_e32 v6, v6
	v_ldexp_f32 v6, v6, v7
	v_cndmask_b32_e32 v6, 0, v6, vcc_lo
	v_cmp_nlt_f32_e32 vcc_lo, 0x42b17218, v5
	v_cndmask_b32_e32 v5, 0x7f800000, v6, vcc_lo
	v_add_f32_e32 v5, 1.0, v5
	v_rcp_f32_e32 v5, v5
	v_fma_f32 v5, v5, -2.0, 1.0
.LBB1_5:                                ;   in Loop: Header=BB1_3 Depth=1
	s_andn2_saveexec_b32 s9, s9
	s_cbranch_execz .LBB1_2
; %bb.6:                                ;   in Loop: Header=BB1_3 Depth=1
	v_mul_f32_e32 v5, v4, v4
	v_fmaak_f32 v6, s7, v5, 0x3ca908c9
	v_fmaak_f32 v6, v5, v6, 0xbd5c1c4e
	;; [unrolled: 1-line block ×4, first 2 shown]
	v_mul_f32_e64 v6, |v4|, v6
	v_fma_f32 v5, v5, v6, |v4|
	s_branch .LBB1_2
.LBB1_7:
	s_endpgm
	.section	.rodata,"a",@progbits
	.p2align	6, 0x0
	.amdhsa_kernel _Z19gelu_bias_loop_baseP6__halfPKS_ii
		.amdhsa_group_segment_fixed_size 0
		.amdhsa_private_segment_fixed_size 0
		.amdhsa_kernarg_size 280
		.amdhsa_user_sgpr_count 6
		.amdhsa_user_sgpr_private_segment_buffer 1
		.amdhsa_user_sgpr_dispatch_ptr 0
		.amdhsa_user_sgpr_queue_ptr 0
		.amdhsa_user_sgpr_kernarg_segment_ptr 1
		.amdhsa_user_sgpr_dispatch_id 0
		.amdhsa_user_sgpr_flat_scratch_init 0
		.amdhsa_user_sgpr_private_segment_size 0
		.amdhsa_wavefront_size32 1
		.amdhsa_uses_dynamic_stack 0
		.amdhsa_system_sgpr_private_segment_wavefront_offset 0
		.amdhsa_system_sgpr_workgroup_id_x 1
		.amdhsa_system_sgpr_workgroup_id_y 1
		.amdhsa_system_sgpr_workgroup_id_z 0
		.amdhsa_system_sgpr_workgroup_info 0
		.amdhsa_system_vgpr_workitem_id 0
		.amdhsa_next_free_vgpr 9
		.amdhsa_next_free_sgpr 11
		.amdhsa_reserve_vcc 1
		.amdhsa_reserve_flat_scratch 0
		.amdhsa_float_round_mode_32 0
		.amdhsa_float_round_mode_16_64 0
		.amdhsa_float_denorm_mode_32 3
		.amdhsa_float_denorm_mode_16_64 3
		.amdhsa_dx10_clamp 1
		.amdhsa_ieee_mode 1
		.amdhsa_fp16_overflow 0
		.amdhsa_workgroup_processor_mode 1
		.amdhsa_memory_ordered 1
		.amdhsa_forward_progress 1
		.amdhsa_shared_vgpr_count 0
		.amdhsa_exception_fp_ieee_invalid_op 0
		.amdhsa_exception_fp_denorm_src 0
		.amdhsa_exception_fp_ieee_div_zero 0
		.amdhsa_exception_fp_ieee_overflow 0
		.amdhsa_exception_fp_ieee_underflow 0
		.amdhsa_exception_fp_ieee_inexact 0
		.amdhsa_exception_int_div_zero 0
	.end_amdhsa_kernel
	.text
.Lfunc_end1:
	.size	_Z19gelu_bias_loop_baseP6__halfPKS_ii, .Lfunc_end1-_Z19gelu_bias_loop_baseP6__halfPKS_ii
                                        ; -- End function
	.set _Z19gelu_bias_loop_baseP6__halfPKS_ii.num_vgpr, 9
	.set _Z19gelu_bias_loop_baseP6__halfPKS_ii.num_agpr, 0
	.set _Z19gelu_bias_loop_baseP6__halfPKS_ii.numbered_sgpr, 11
	.set _Z19gelu_bias_loop_baseP6__halfPKS_ii.num_named_barrier, 0
	.set _Z19gelu_bias_loop_baseP6__halfPKS_ii.private_seg_size, 0
	.set _Z19gelu_bias_loop_baseP6__halfPKS_ii.uses_vcc, 1
	.set _Z19gelu_bias_loop_baseP6__halfPKS_ii.uses_flat_scratch, 0
	.set _Z19gelu_bias_loop_baseP6__halfPKS_ii.has_dyn_sized_stack, 0
	.set _Z19gelu_bias_loop_baseP6__halfPKS_ii.has_recursion, 0
	.set _Z19gelu_bias_loop_baseP6__halfPKS_ii.has_indirect_call, 0
	.section	.AMDGPU.csdata,"",@progbits
; Kernel info:
; codeLenInByte = 464
; TotalNumSgprs: 13
; NumVgprs: 9
; ScratchSize: 0
; MemoryBound: 0
; FloatMode: 240
; IeeeMode: 1
; LDSByteSize: 0 bytes/workgroup (compile time only)
; SGPRBlocks: 0
; VGPRBlocks: 1
; NumSGPRsForWavesPerEU: 13
; NumVGPRsForWavesPerEU: 9
; Occupancy: 16
; WaveLimiterHint : 0
; COMPUTE_PGM_RSRC2:SCRATCH_EN: 0
; COMPUTE_PGM_RSRC2:USER_SGPR: 6
; COMPUTE_PGM_RSRC2:TRAP_HANDLER: 0
; COMPUTE_PGM_RSRC2:TGID_X_EN: 1
; COMPUTE_PGM_RSRC2:TGID_Y_EN: 1
; COMPUTE_PGM_RSRC2:TGID_Z_EN: 0
; COMPUTE_PGM_RSRC2:TIDIG_COMP_CNT: 0
	.text
	.p2alignl 6, 3214868480
	.fill 48, 4, 3214868480
	.section	.AMDGPU.gpr_maximums,"",@progbits
	.set amdgpu.max_num_vgpr, 0
	.set amdgpu.max_num_agpr, 0
	.set amdgpu.max_num_sgpr, 0
	.text
	.type	__hip_cuid_9dac769b8ae82132,@object ; @__hip_cuid_9dac769b8ae82132
	.section	.bss,"aw",@nobits
	.globl	__hip_cuid_9dac769b8ae82132
__hip_cuid_9dac769b8ae82132:
	.byte	0                               ; 0x0
	.size	__hip_cuid_9dac769b8ae82132, 1

	.ident	"AMD clang version 22.0.0git (https://github.com/RadeonOpenCompute/llvm-project roc-7.2.4 26084 f58b06dce1f9c15707c5f808fd002e18c2accf7e)"
	.section	".note.GNU-stack","",@progbits
	.addrsig
	.addrsig_sym __hip_cuid_9dac769b8ae82132
	.amdgpu_metadata
---
amdhsa.kernels:
  - .args:
      - .address_space:  global
        .offset:         0
        .size:           8
        .value_kind:     global_buffer
      - .address_space:  global
        .offset:         8
        .size:           8
        .value_kind:     global_buffer
      - .offset:         16
        .size:           4
        .value_kind:     by_value
      - .offset:         20
        .size:           4
        .value_kind:     by_value
      - .offset:         24
        .size:           4
        .value_kind:     hidden_block_count_x
      - .offset:         28
        .size:           4
        .value_kind:     hidden_block_count_y
      - .offset:         32
        .size:           4
        .value_kind:     hidden_block_count_z
      - .offset:         36
        .size:           2
        .value_kind:     hidden_group_size_x
      - .offset:         38
        .size:           2
        .value_kind:     hidden_group_size_y
      - .offset:         40
        .size:           2
        .value_kind:     hidden_group_size_z
      - .offset:         42
        .size:           2
        .value_kind:     hidden_remainder_x
      - .offset:         44
        .size:           2
        .value_kind:     hidden_remainder_y
      - .offset:         46
        .size:           2
        .value_kind:     hidden_remainder_z
      - .offset:         64
        .size:           8
        .value_kind:     hidden_global_offset_x
      - .offset:         72
        .size:           8
        .value_kind:     hidden_global_offset_y
      - .offset:         80
        .size:           8
        .value_kind:     hidden_global_offset_z
      - .offset:         88
        .size:           2
        .value_kind:     hidden_grid_dims
    .group_segment_fixed_size: 0
    .kernarg_segment_align: 8
    .kernarg_segment_size: 280
    .language:       OpenCL C
    .language_version:
      - 2
      - 0
    .max_flat_workgroup_size: 1024
    .name:           _Z14gelu_bias_loopP6__halfPKS_ii
    .private_segment_fixed_size: 0
    .sgpr_count:     13
    .sgpr_spill_count: 0
    .symbol:         _Z14gelu_bias_loopP6__halfPKS_ii.kd
    .uniform_work_group_size: 1
    .uses_dynamic_stack: false
    .vgpr_count:     12
    .vgpr_spill_count: 0
    .wavefront_size: 32
    .workgroup_processor_mode: 1
  - .args:
      - .address_space:  global
        .offset:         0
        .size:           8
        .value_kind:     global_buffer
      - .address_space:  global
        .offset:         8
        .size:           8
        .value_kind:     global_buffer
      - .offset:         16
        .size:           4
        .value_kind:     by_value
      - .offset:         20
        .size:           4
        .value_kind:     by_value
      - .offset:         24
        .size:           4
        .value_kind:     hidden_block_count_x
      - .offset:         28
        .size:           4
        .value_kind:     hidden_block_count_y
      - .offset:         32
        .size:           4
        .value_kind:     hidden_block_count_z
      - .offset:         36
        .size:           2
        .value_kind:     hidden_group_size_x
      - .offset:         38
        .size:           2
        .value_kind:     hidden_group_size_y
      - .offset:         40
        .size:           2
        .value_kind:     hidden_group_size_z
      - .offset:         42
        .size:           2
        .value_kind:     hidden_remainder_x
      - .offset:         44
        .size:           2
        .value_kind:     hidden_remainder_y
      - .offset:         46
        .size:           2
        .value_kind:     hidden_remainder_z
      - .offset:         64
        .size:           8
        .value_kind:     hidden_global_offset_x
      - .offset:         72
        .size:           8
        .value_kind:     hidden_global_offset_y
      - .offset:         80
        .size:           8
        .value_kind:     hidden_global_offset_z
      - .offset:         88
        .size:           2
        .value_kind:     hidden_grid_dims
    .group_segment_fixed_size: 0
    .kernarg_segment_align: 8
    .kernarg_segment_size: 280
    .language:       OpenCL C
    .language_version:
      - 2
      - 0
    .max_flat_workgroup_size: 1024
    .name:           _Z19gelu_bias_loop_baseP6__halfPKS_ii
    .private_segment_fixed_size: 0
    .sgpr_count:     13
    .sgpr_spill_count: 0
    .symbol:         _Z19gelu_bias_loop_baseP6__halfPKS_ii.kd
    .uniform_work_group_size: 1
    .uses_dynamic_stack: false
    .vgpr_count:     9
    .vgpr_spill_count: 0
    .wavefront_size: 32
    .workgroup_processor_mode: 1
amdhsa.target:   amdgcn-amd-amdhsa--gfx1030
amdhsa.version:
  - 1
  - 2
...

	.end_amdgpu_metadata
